;; amdgpu-corpus repo=ROCm/rocFFT kind=compiled arch=gfx906 opt=O3
	.text
	.amdgcn_target "amdgcn-amd-amdhsa--gfx906"
	.amdhsa_code_object_version 6
	.protected	bluestein_single_fwd_len98_dim1_dp_op_CI_CI ; -- Begin function bluestein_single_fwd_len98_dim1_dp_op_CI_CI
	.globl	bluestein_single_fwd_len98_dim1_dp_op_CI_CI
	.p2align	8
	.type	bluestein_single_fwd_len98_dim1_dp_op_CI_CI,@function
bluestein_single_fwd_len98_dim1_dp_op_CI_CI: ; @bluestein_single_fwd_len98_dim1_dp_op_CI_CI
; %bb.0:
	v_mul_u32_u24_e32 v1, 0x124a, v0
	s_load_dwordx4 s[12:15], s[4:5], 0x28
	v_lshrrev_b32_e32 v1, 16, v1
	v_mad_u64_u32 v[104:105], s[0:1], s6, 18, v[1:2]
	v_mov_b32_e32 v105, 0
	s_waitcnt lgkmcnt(0)
	v_cmp_gt_u64_e32 vcc, s[12:13], v[104:105]
	s_and_saveexec_b64 s[0:1], vcc
	s_cbranch_execz .LBB0_15
; %bb.1:
	s_load_dwordx4 s[0:3], s[4:5], 0x18
	s_load_dwordx2 s[12:13], s[4:5], 0x0
	v_mul_lo_u16_e32 v1, 14, v1
	v_sub_u16_e32 v107, v0, v1
	v_lshlrev_b32_e32 v80, 4, v107
	s_waitcnt lgkmcnt(0)
	s_load_dwordx4 s[8:11], s[0:1], 0x0
	s_mov_b32 s6, 0x38e38e39
	v_mul_hi_u32 v50, v104, s6
	v_mov_b32_e32 v51, s13
	s_waitcnt lgkmcnt(0)
	v_mad_u64_u32 v[0:1], s[0:1], s10, v104, 0
	v_mad_u64_u32 v[2:3], s[0:1], s8, v107, 0
	v_lshrrev_b32_e32 v50, 2, v50
	v_mul_lo_u32 v50, v50, 18
	v_mad_u64_u32 v[4:5], s[0:1], s11, v104, v[1:2]
	v_sub_u32_e32 v50, v104, v50
	v_mad_u64_u32 v[5:6], s[0:1], s9, v107, v[3:4]
	v_mov_b32_e32 v1, v4
	v_lshlrev_b64 v[0:1], 4, v[0:1]
	v_mov_b32_e32 v6, s15
	v_mov_b32_e32 v3, v5
	v_add_co_u32_e32 v4, vcc, s14, v0
	v_addc_co_u32_e32 v5, vcc, v6, v1, vcc
	v_lshlrev_b64 v[0:1], 4, v[2:3]
	s_mul_i32 s0, s9, 49
	s_mul_hi_u32 s1, s8, 49
	s_add_i32 s1, s1, s0
	s_mul_i32 s0, s8, 49
	v_add_co_u32_e32 v0, vcc, v4, v0
	s_lshl_b64 s[14:15], s[0:1], 4
	s_mul_hi_u32 s1, s8, 0xffffffdd
	v_addc_co_u32_e32 v1, vcc, v5, v1, vcc
	s_mul_i32 s0, s9, 0xffffffdd
	s_sub_i32 s1, s1, s8
	v_mov_b32_e32 v25, s15
	v_add_co_u32_e32 v4, vcc, s14, v0
	s_add_i32 s1, s1, s0
	s_mul_i32 s0, s8, 0xffffffdd
	v_addc_co_u32_e32 v5, vcc, v1, v25, vcc
	s_lshl_b64 s[0:1], s[0:1], 4
	v_mov_b32_e32 v12, s1
	v_add_co_u32_e32 v6, vcc, s0, v4
	v_addc_co_u32_e32 v7, vcc, v5, v12, vcc
	global_load_dwordx4 v[26:29], v[0:1], off
	v_add_co_u32_e32 v16, vcc, s14, v6
	global_load_dwordx4 v[0:3], v80, s[12:13] offset:784
	global_load_dwordx4 v[30:33], v[4:5], off
	global_load_dwordx4 v[34:37], v[6:7], off
	global_load_dwordx4 v[20:23], v80, s[12:13]
	global_load_dwordx4 v[8:11], v80, s[12:13] offset:224
	v_addc_co_u32_e32 v17, vcc, v7, v25, vcc
	v_add_co_u32_e32 v18, vcc, s0, v16
	global_load_dwordx4 v[4:7], v80, s[12:13] offset:1008
	v_addc_co_u32_e32 v19, vcc, v17, v12, vcc
	global_load_dwordx4 v[38:41], v[16:17], off
	global_load_dwordx4 v[42:45], v[18:19], off
	global_load_dwordx4 v[12:15], v80, s[12:13] offset:448
	v_add_co_u32_e32 v24, vcc, s14, v18
	v_addc_co_u32_e32 v25, vcc, v19, v25, vcc
	global_load_dwordx4 v[16:19], v80, s[12:13] offset:1232
	global_load_dwordx4 v[46:49], v[24:25], off
	v_add_co_u32_e32 v105, vcc, s12, v80
	v_addc_co_u32_e32 v106, vcc, 0, v51, vcc
	v_mul_u32_u24_e32 v74, 0x62, v50
	s_load_dwordx2 s[6:7], s[4:5], 0x38
	s_load_dwordx4 s[8:11], s[2:3], 0x0
	v_cmp_gt_u16_e32 vcc, 7, v107
	s_waitcnt vmcnt(9)
	v_mul_f64 v[54:55], v[32:33], v[2:3]
	s_waitcnt vmcnt(7)
	v_mul_f64 v[50:51], v[28:29], v[22:23]
	v_mul_f64 v[52:53], v[26:27], v[22:23]
	;; [unrolled: 1-line block ×3, first 2 shown]
	s_waitcnt vmcnt(6)
	v_mul_f64 v[58:59], v[36:37], v[10:11]
	v_mul_f64 v[60:61], v[34:35], v[10:11]
	s_waitcnt vmcnt(4)
	v_mul_f64 v[62:63], v[40:41], v[6:7]
	v_mul_f64 v[64:65], v[38:39], v[6:7]
	;; [unrolled: 3-line block ×3, first 2 shown]
	v_fma_f64 v[26:27], v[26:27], v[20:21], v[50:51]
	v_fma_f64 v[28:29], v[28:29], v[20:21], -v[52:53]
	v_fma_f64 v[30:31], v[30:31], v[0:1], v[54:55]
	s_waitcnt vmcnt(0)
	v_mul_f64 v[70:71], v[48:49], v[18:19]
	v_mul_f64 v[72:73], v[46:47], v[18:19]
	v_fma_f64 v[32:33], v[32:33], v[0:1], -v[56:57]
	v_fma_f64 v[34:35], v[34:35], v[8:9], v[58:59]
	v_fma_f64 v[36:37], v[36:37], v[8:9], -v[60:61]
	v_fma_f64 v[38:39], v[38:39], v[4:5], v[62:63]
	;; [unrolled: 2-line block ×4, first 2 shown]
	v_fma_f64 v[48:49], v[48:49], v[16:17], -v[72:73]
	v_lshlrev_b32_e32 v56, 4, v74
	v_add_u32_e32 v108, v80, v56
	ds_write_b128 v108, v[26:29]
	ds_write_b128 v108, v[30:33] offset:784
	ds_write_b128 v108, v[34:37] offset:224
	;; [unrolled: 1-line block ×5, first 2 shown]
	s_and_saveexec_b64 s[2:3], vcc
	s_cbranch_execz .LBB0_3
; %bb.2:
	v_mov_b32_e32 v26, s1
	v_add_co_u32_e64 v28, s[0:1], s0, v24
	v_addc_co_u32_e64 v29, s[0:1], v25, v26, s[0:1]
	global_load_dwordx4 v[24:27], v[28:29], off
	v_mov_b32_e32 v30, s15
	v_add_co_u32_e64 v40, s[0:1], s14, v28
	v_addc_co_u32_e64 v41, s[0:1], v29, v30, s[0:1]
	global_load_dwordx4 v[28:31], v[105:106], off offset:672
	global_load_dwordx4 v[32:35], v[105:106], off offset:1456
	global_load_dwordx4 v[36:39], v[40:41], off
	s_waitcnt vmcnt(2)
	v_mul_f64 v[40:41], v[26:27], v[30:31]
	v_mul_f64 v[30:31], v[24:25], v[30:31]
	s_waitcnt vmcnt(0)
	v_mul_f64 v[42:43], v[38:39], v[34:35]
	v_mul_f64 v[34:35], v[36:37], v[34:35]
	v_fma_f64 v[24:25], v[24:25], v[28:29], v[40:41]
	v_fma_f64 v[26:27], v[26:27], v[28:29], -v[30:31]
	v_fma_f64 v[28:29], v[36:37], v[32:33], v[42:43]
	v_fma_f64 v[30:31], v[38:39], v[32:33], -v[34:35]
	ds_write_b128 v108, v[24:27] offset:672
	ds_write_b128 v108, v[28:31] offset:1456
.LBB0_3:
	s_or_b64 exec, exec, s[2:3]
	s_waitcnt lgkmcnt(0)
	s_barrier
	ds_read_b128 v[32:35], v108
	ds_read_b128 v[36:39], v108 offset:224
	ds_read_b128 v[52:55], v108 offset:784
	;; [unrolled: 1-line block ×5, first 2 shown]
	s_load_dwordx2 s[2:3], s[4:5], 0x8
                                        ; implicit-def: $vgpr28_vgpr29
                                        ; implicit-def: $vgpr44_vgpr45
	s_and_saveexec_b64 s[0:1], vcc
	s_cbranch_execz .LBB0_5
; %bb.4:
	ds_read_b128 v[28:31], v108 offset:672
	ds_read_b128 v[44:47], v108 offset:1456
.LBB0_5:
	s_or_b64 exec, exec, s[0:1]
	s_waitcnt lgkmcnt(0)
	v_add_f64 v[52:53], v[32:33], -v[52:53]
	v_add_f64 v[54:55], v[34:35], -v[54:55]
	;; [unrolled: 1-line block ×6, first 2 shown]
	v_add_co_u32_e64 v61, s[0:1], 42, v107
	v_fma_f64 v[32:33], v[32:33], 2.0, -v[52:53]
	v_fma_f64 v[34:35], v[34:35], 2.0, -v[54:55]
	;; [unrolled: 1-line block ×6, first 2 shown]
	v_add_f64 v[24:25], v[28:29], -v[44:45]
	v_add_f64 v[26:27], v[30:31], -v[46:47]
	v_lshlrev_b16_e32 v44, 1, v107
	v_lshl_add_u32 v110, v44, 4, v56
	v_lshl_add_u32 v112, v107, 5, v56
	;; [unrolled: 1-line block ×3, first 2 shown]
	s_barrier
	ds_write_b128 v110, v[32:35]
	ds_write_b128 v110, v[52:55] offset:16
	ds_write_b128 v112, v[36:39] offset:448
	;; [unrolled: 1-line block ×5, first 2 shown]
	s_and_saveexec_b64 s[0:1], vcc
	s_cbranch_execz .LBB0_7
; %bb.6:
	v_fma_f64 v[30:31], v[30:31], 2.0, -v[26:27]
	v_fma_f64 v[28:29], v[28:29], 2.0, -v[24:25]
	ds_write_b128 v109, v[28:31]
	ds_write_b128 v109, v[24:27] offset:16
.LBB0_7:
	s_or_b64 exec, exec, s[0:1]
	v_and_b32_e32 v77, 1, v107
	v_mul_u32_u24_e32 v28, 6, v77
	v_lshlrev_b32_e32 v52, 4, v28
	s_waitcnt lgkmcnt(0)
	s_barrier
	global_load_dwordx4 v[40:43], v52, s[2:3]
	global_load_dwordx4 v[36:39], v52, s[2:3] offset:16
	global_load_dwordx4 v[32:35], v52, s[2:3] offset:32
	global_load_dwordx4 v[28:31], v52, s[2:3] offset:48
	global_load_dwordx4 v[44:47], v52, s[2:3] offset:80
	global_load_dwordx4 v[48:51], v52, s[2:3] offset:64
	ds_read_b128 v[52:55], v108
	ds_read_b128 v[57:60], v108 offset:224
	ds_read_b128 v[61:64], v108 offset:448
	;; [unrolled: 1-line block ×6, first 2 shown]
	v_lshrrev_b32_e32 v78, 1, v107
	v_mul_u32_u24_e32 v78, 14, v78
	v_or_b32_e32 v79, v78, v77
	s_mov_b32 s4, 0x37e14327
	s_mov_b32 s0, 0x36b3c0b5
	;; [unrolled: 1-line block ×20, first 2 shown]
	v_lshl_add_u32 v111, v79, 4, v56
	s_waitcnt vmcnt(0) lgkmcnt(0)
	s_barrier
	s_movk_i32 s30, 0x60
	v_mul_f64 v[77:78], v[59:60], v[42:43]
	v_mul_f64 v[85:86], v[57:58], v[42:43]
	;; [unrolled: 1-line block ×12, first 2 shown]
	v_fma_f64 v[57:58], v[57:58], v[40:41], -v[77:78]
	v_fma_f64 v[59:60], v[59:60], v[40:41], v[85:86]
	v_fma_f64 v[61:62], v[61:62], v[36:37], -v[87:88]
	v_fma_f64 v[63:64], v[63:64], v[36:37], v[89:90]
	v_fma_f64 v[77:78], v[81:82], v[44:45], -v[99:100]
	v_fma_f64 v[81:82], v[83:84], v[44:45], v[101:102]
	v_fma_f64 v[73:74], v[73:74], v[48:49], -v[113:114]
	v_fma_f64 v[75:76], v[75:76], v[48:49], v[115:116]
	v_fma_f64 v[65:66], v[65:66], v[32:33], -v[91:92]
	v_fma_f64 v[67:68], v[67:68], v[32:33], v[93:94]
	v_fma_f64 v[69:70], v[69:70], v[28:29], -v[95:96]
	v_fma_f64 v[71:72], v[71:72], v[28:29], v[97:98]
	v_add_f64 v[83:84], v[57:58], v[77:78]
	v_add_f64 v[85:86], v[59:60], v[81:82]
	v_add_f64 v[57:58], v[57:58], -v[77:78]
	v_add_f64 v[59:60], v[59:60], -v[81:82]
	v_add_f64 v[77:78], v[61:62], v[73:74]
	v_add_f64 v[81:82], v[63:64], v[75:76]
	v_add_f64 v[61:62], v[61:62], -v[73:74]
	v_add_f64 v[63:64], v[63:64], -v[75:76]
	;; [unrolled: 4-line block ×4, first 2 shown]
	v_add_f64 v[83:84], v[83:84], -v[73:74]
	v_add_f64 v[85:86], v[85:86], -v[75:76]
	;; [unrolled: 1-line block ×4, first 2 shown]
	v_add_f64 v[91:92], v[65:66], v[61:62]
	v_add_f64 v[93:94], v[67:68], v[63:64]
	v_add_f64 v[95:96], v[65:66], -v[61:62]
	v_add_f64 v[97:98], v[67:68], -v[63:64]
	v_add_f64 v[69:70], v[73:74], v[69:70]
	v_add_f64 v[71:72], v[75:76], v[71:72]
	v_add_f64 v[61:62], v[61:62], -v[57:58]
	v_add_f64 v[63:64], v[63:64], -v[59:60]
	;; [unrolled: 1-line block ×4, first 2 shown]
	v_add_f64 v[57:58], v[91:92], v[57:58]
	v_add_f64 v[59:60], v[93:94], v[59:60]
	v_mul_f64 v[73:74], v[83:84], s[4:5]
	v_mul_f64 v[75:76], v[85:86], s[4:5]
	;; [unrolled: 1-line block ×6, first 2 shown]
	v_add_f64 v[52:53], v[52:53], v[69:70]
	v_add_f64 v[54:55], v[54:55], v[71:72]
	v_mul_f64 v[95:96], v[61:62], s[14:15]
	v_mul_f64 v[97:98], v[63:64], s[14:15]
	v_fma_f64 v[77:78], v[77:78], s[0:1], v[73:74]
	v_fma_f64 v[81:82], v[81:82], s[0:1], v[75:76]
	v_fma_f64 v[83:84], v[87:88], s[20:21], -v[83:84]
	v_fma_f64 v[85:86], v[89:90], s[20:21], -v[85:86]
	;; [unrolled: 1-line block ×4, first 2 shown]
	v_fma_f64 v[87:88], v[65:66], s[24:25], v[91:92]
	v_fma_f64 v[89:90], v[67:68], s[24:25], v[93:94]
	;; [unrolled: 1-line block ×4, first 2 shown]
	v_fma_f64 v[65:66], v[65:66], s[28:29], -v[95:96]
	v_fma_f64 v[67:68], v[67:68], s[28:29], -v[97:98]
	;; [unrolled: 1-line block ×4, first 2 shown]
	v_fma_f64 v[87:88], v[57:58], s[26:27], v[87:88]
	v_fma_f64 v[89:90], v[59:60], s[26:27], v[89:90]
	v_add_f64 v[77:78], v[77:78], v[69:70]
	v_add_f64 v[99:100], v[81:82], v[71:72]
	v_fma_f64 v[95:96], v[57:58], s[26:27], v[65:66]
	v_fma_f64 v[97:98], v[59:60], s[26:27], v[67:68]
	v_add_f64 v[73:74], v[73:74], v[69:70]
	v_add_f64 v[75:76], v[75:76], v[71:72]
	;; [unrolled: 4-line block ×3, first 2 shown]
	v_add_f64 v[57:58], v[89:90], v[77:78]
	v_add_f64 v[59:60], v[99:100], -v[87:88]
	v_add_f64 v[61:62], v[97:98], v[73:74]
	v_add_f64 v[63:64], v[75:76], -v[95:96]
	v_add_f64 v[73:74], v[73:74], -v[97:98]
	v_add_f64 v[75:76], v[95:96], v[75:76]
	v_add_f64 v[65:66], v[69:70], -v[93:94]
	v_add_f64 v[67:68], v[91:92], v[71:72]
	v_add_f64 v[69:70], v[93:94], v[69:70]
	v_add_f64 v[71:72], v[71:72], -v[91:92]
	v_add_f64 v[81:82], v[77:78], -v[89:90]
	v_add_f64 v[83:84], v[87:88], v[99:100]
	ds_write_b128 v111, v[52:55]
	ds_write_b128 v111, v[57:60] offset:32
	ds_write_b128 v111, v[61:64] offset:64
	;; [unrolled: 1-line block ×6, first 2 shown]
	v_mov_b32_e32 v53, s3
	v_mov_b32_e32 v52, s2
	v_mad_u64_u32 v[76:77], s[2:3], v107, s30, v[52:53]
	s_waitcnt lgkmcnt(0)
	s_barrier
	global_load_dwordx4 v[64:67], v[76:77], off offset:192
	global_load_dwordx4 v[60:63], v[76:77], off offset:208
	;; [unrolled: 1-line block ×6, first 2 shown]
	ds_read_b128 v[76:79], v108
	ds_read_b128 v[81:84], v108 offset:224
	ds_read_b128 v[85:88], v108 offset:448
	;; [unrolled: 1-line block ×6, first 2 shown]
	s_waitcnt vmcnt(5) lgkmcnt(5)
	v_mul_f64 v[101:102], v[83:84], v[66:67]
	v_mul_f64 v[117:118], v[81:82], v[66:67]
	s_waitcnt vmcnt(4) lgkmcnt(4)
	v_mul_f64 v[119:120], v[87:88], v[62:63]
	v_mul_f64 v[121:122], v[85:86], v[62:63]
	;; [unrolled: 3-line block ×3, first 2 shown]
	s_waitcnt vmcnt(0)
	v_mul_f64 v[135:136], v[99:100], v[74:75]
	v_mul_f64 v[137:138], v[97:98], v[74:75]
	;; [unrolled: 1-line block ×6, first 2 shown]
	v_fma_f64 v[81:82], v[81:82], v[64:65], -v[101:102]
	v_fma_f64 v[83:84], v[83:84], v[64:65], v[117:118]
	v_fma_f64 v[85:86], v[85:86], v[60:61], -v[119:120]
	v_fma_f64 v[87:88], v[87:88], v[60:61], v[121:122]
	;; [unrolled: 2-line block ×6, first 2 shown]
	v_add_f64 v[115:116], v[81:82], v[101:102]
	v_add_f64 v[117:118], v[83:84], v[113:114]
	v_add_f64 v[81:82], v[81:82], -v[101:102]
	v_add_f64 v[83:84], v[83:84], -v[113:114]
	v_add_f64 v[101:102], v[85:86], v[97:98]
	v_add_f64 v[113:114], v[87:88], v[99:100]
	v_add_f64 v[85:86], v[85:86], -v[97:98]
	v_add_f64 v[87:88], v[87:88], -v[99:100]
	v_add_f64 v[97:98], v[89:90], v[93:94]
	v_add_f64 v[99:100], v[91:92], v[95:96]
	v_add_f64 v[89:90], v[93:94], -v[89:90]
	v_add_f64 v[91:92], v[95:96], -v[91:92]
	v_add_f64 v[93:94], v[101:102], v[115:116]
	v_add_f64 v[95:96], v[113:114], v[117:118]
	v_add_f64 v[119:120], v[101:102], -v[115:116]
	v_add_f64 v[121:122], v[113:114], -v[117:118]
	v_add_f64 v[115:116], v[115:116], -v[97:98]
	v_add_f64 v[117:118], v[117:118], -v[99:100]
	;; [unrolled: 1-line block ×4, first 2 shown]
	v_add_f64 v[123:124], v[89:90], v[85:86]
	v_add_f64 v[125:126], v[91:92], v[87:88]
	v_add_f64 v[127:128], v[89:90], -v[85:86]
	v_add_f64 v[129:130], v[91:92], -v[87:88]
	v_add_f64 v[93:94], v[97:98], v[93:94]
	v_add_f64 v[95:96], v[99:100], v[95:96]
	v_add_f64 v[85:86], v[85:86], -v[81:82]
	v_add_f64 v[87:88], v[87:88], -v[83:84]
	;; [unrolled: 1-line block ×4, first 2 shown]
	v_add_f64 v[97:98], v[123:124], v[81:82]
	v_add_f64 v[99:100], v[125:126], v[83:84]
	v_mul_f64 v[115:116], v[115:116], s[4:5]
	v_mul_f64 v[117:118], v[117:118], s[4:5]
	;; [unrolled: 1-line block ×6, first 2 shown]
	v_add_f64 v[81:82], v[76:77], v[93:94]
	v_add_f64 v[83:84], v[78:79], v[95:96]
	v_mul_f64 v[131:132], v[85:86], s[14:15]
	v_mul_f64 v[133:134], v[87:88], s[14:15]
	v_fma_f64 v[76:77], v[101:102], s[0:1], v[115:116]
	v_fma_f64 v[78:79], v[113:114], s[0:1], v[117:118]
	v_fma_f64 v[101:102], v[119:120], s[20:21], -v[123:124]
	v_fma_f64 v[113:114], v[121:122], s[20:21], -v[125:126]
	v_fma_f64 v[115:116], v[119:120], s[22:23], -v[115:116]
	v_fma_f64 v[117:118], v[121:122], s[22:23], -v[117:118]
	v_fma_f64 v[119:120], v[89:90], s[24:25], v[127:128]
	v_fma_f64 v[121:122], v[91:92], s[24:25], v[129:130]
	;; [unrolled: 1-line block ×4, first 2 shown]
	v_fma_f64 v[89:90], v[89:90], s[28:29], -v[131:132]
	v_fma_f64 v[91:92], v[91:92], s[28:29], -v[133:134]
	;; [unrolled: 1-line block ×4, first 2 shown]
	v_fma_f64 v[119:120], v[97:98], s[26:27], v[119:120]
	v_fma_f64 v[121:122], v[99:100], s[26:27], v[121:122]
	v_add_f64 v[76:77], v[76:77], v[93:94]
	v_add_f64 v[78:79], v[78:79], v[95:96]
	v_fma_f64 v[127:128], v[97:98], s[26:27], v[89:90]
	v_fma_f64 v[129:130], v[99:100], s[26:27], v[91:92]
	v_add_f64 v[115:116], v[115:116], v[93:94]
	v_add_f64 v[117:118], v[117:118], v[95:96]
	;; [unrolled: 4-line block ×3, first 2 shown]
	v_add_f64 v[85:86], v[121:122], v[76:77]
	v_add_f64 v[87:88], v[78:79], -v[119:120]
	v_add_f64 v[89:90], v[129:130], v[115:116]
	v_add_f64 v[91:92], v[117:118], -v[127:128]
	v_add_f64 v[113:114], v[115:116], -v[129:130]
	v_add_f64 v[115:116], v[127:128], v[117:118]
	v_add_f64 v[93:94], v[97:98], -v[125:126]
	v_add_f64 v[95:96], v[123:124], v[99:100]
	v_add_f64 v[97:98], v[125:126], v[97:98]
	v_add_f64 v[99:100], v[99:100], -v[123:124]
	v_add_f64 v[76:77], v[76:77], -v[121:122]
	v_add_f64 v[78:79], v[119:120], v[78:79]
	ds_write_b128 v108, v[81:84]
	ds_write_b128 v108, v[85:88] offset:224
	ds_write_b128 v108, v[89:92] offset:448
	;; [unrolled: 1-line block ×6, first 2 shown]
	s_waitcnt lgkmcnt(0)
	s_barrier
	global_load_dwordx4 v[81:84], v[105:106], off offset:1568
	s_add_u32 s0, s12, 0x620
	s_addc_u32 s1, s13, 0
	global_load_dwordx4 v[85:88], v80, s[0:1] offset:784
	global_load_dwordx4 v[89:92], v80, s[0:1] offset:224
	;; [unrolled: 1-line block ×5, first 2 shown]
	ds_read_b128 v[117:120], v108
	ds_read_b128 v[121:124], v108 offset:224
	ds_read_b128 v[125:128], v108 offset:784
	;; [unrolled: 1-line block ×5, first 2 shown]
	s_waitcnt vmcnt(4) lgkmcnt(3)
	v_mul_f64 v[141:142], v[127:128], v[87:88]
	v_mul_f64 v[101:102], v[119:120], v[83:84]
	;; [unrolled: 1-line block ×4, first 2 shown]
	s_waitcnt vmcnt(3)
	v_mul_f64 v[143:144], v[123:124], v[91:92]
	v_mul_f64 v[91:92], v[121:122], v[91:92]
	s_waitcnt vmcnt(2) lgkmcnt(1)
	v_mul_f64 v[145:146], v[135:136], v[95:96]
	v_mul_f64 v[95:96], v[133:134], v[95:96]
	s_waitcnt vmcnt(1)
	v_mul_f64 v[147:148], v[131:132], v[99:100]
	v_mul_f64 v[149:150], v[129:130], v[99:100]
	s_waitcnt vmcnt(0) lgkmcnt(0)
	v_mul_f64 v[151:152], v[139:140], v[115:116]
	v_mul_f64 v[153:154], v[137:138], v[115:116]
	v_fma_f64 v[99:100], v[117:118], v[81:82], -v[101:102]
	v_fma_f64 v[101:102], v[119:120], v[81:82], v[83:84]
	v_fma_f64 v[81:82], v[125:126], v[85:86], -v[141:142]
	v_fma_f64 v[83:84], v[127:128], v[85:86], v[87:88]
	;; [unrolled: 2-line block ×6, first 2 shown]
	ds_write_b128 v108, v[99:102]
	ds_write_b128 v108, v[81:84] offset:784
	ds_write_b128 v108, v[85:88] offset:224
	;; [unrolled: 1-line block ×5, first 2 shown]
	s_and_saveexec_b64 s[2:3], vcc
	s_cbranch_execz .LBB0_9
; %bb.8:
	v_mov_b32_e32 v81, s1
	v_add_co_u32_e64 v88, s[0:1], s0, v80
	v_addc_co_u32_e64 v89, s[0:1], 0, v81, s[0:1]
	global_load_dwordx4 v[80:83], v[88:89], off offset:672
	global_load_dwordx4 v[84:87], v[88:89], off offset:1456
	ds_read_b128 v[88:91], v108 offset:672
	ds_read_b128 v[92:95], v108 offset:1456
	s_waitcnt vmcnt(1) lgkmcnt(1)
	v_mul_f64 v[96:97], v[90:91], v[82:83]
	v_mul_f64 v[82:83], v[88:89], v[82:83]
	s_waitcnt vmcnt(0) lgkmcnt(0)
	v_mul_f64 v[98:99], v[94:95], v[86:87]
	v_mul_f64 v[100:101], v[92:93], v[86:87]
	v_fma_f64 v[86:87], v[88:89], v[80:81], -v[96:97]
	v_fma_f64 v[88:89], v[90:91], v[80:81], v[82:83]
	v_fma_f64 v[80:81], v[92:93], v[84:85], -v[98:99]
	v_fma_f64 v[82:83], v[94:95], v[84:85], v[100:101]
	ds_write_b128 v108, v[86:89] offset:672
	ds_write_b128 v108, v[80:83] offset:1456
.LBB0_9:
	s_or_b64 exec, exec, s[2:3]
	s_waitcnt lgkmcnt(0)
	s_barrier
	ds_read_b128 v[84:87], v108
	ds_read_b128 v[88:91], v108 offset:224
	ds_read_b128 v[100:103], v108 offset:784
	;; [unrolled: 1-line block ×5, first 2 shown]
	v_add_u32_e32 v113, 0x1c0, v112
	v_add_u32_e32 v112, 0x380, v112
	s_and_saveexec_b64 s[0:1], vcc
	s_cbranch_execz .LBB0_11
; %bb.10:
	ds_read_b128 v[76:79], v108 offset:672
	ds_read_b128 v[24:27], v108 offset:1456
.LBB0_11:
	s_or_b64 exec, exec, s[0:1]
	s_waitcnt lgkmcnt(3)
	v_add_f64 v[100:101], v[84:85], -v[100:101]
	v_add_f64 v[102:103], v[86:87], -v[102:103]
	s_waitcnt lgkmcnt(1)
	v_add_f64 v[96:97], v[88:89], -v[96:97]
	v_add_f64 v[98:99], v[90:91], -v[98:99]
	;; [unrolled: 3-line block ×3, first 2 shown]
	s_barrier
	v_fma_f64 v[84:85], v[84:85], 2.0, -v[100:101]
	v_fma_f64 v[86:87], v[86:87], 2.0, -v[102:103]
	;; [unrolled: 1-line block ×6, first 2 shown]
	ds_write_b128 v110, v[100:103] offset:16
	ds_write_b128 v110, v[84:87]
	ds_write_b128 v113, v[88:91]
	ds_write_b128 v113, v[96:99] offset:16
	ds_write_b128 v112, v[80:83]
	ds_write_b128 v112, v[92:95] offset:16
	s_and_saveexec_b64 s[0:1], vcc
	s_cbranch_execz .LBB0_13
; %bb.12:
	v_add_f64 v[26:27], v[78:79], -v[26:27]
	v_add_f64 v[24:25], v[76:77], -v[24:25]
	v_fma_f64 v[78:79], v[78:79], 2.0, -v[26:27]
	v_fma_f64 v[76:77], v[76:77], 2.0, -v[24:25]
	ds_write_b128 v109, v[76:79]
	ds_write_b128 v109, v[24:27] offset:16
.LBB0_13:
	s_or_b64 exec, exec, s[0:1]
	s_waitcnt lgkmcnt(0)
	s_barrier
	ds_read_b128 v[24:27], v108 offset:224
	ds_read_b128 v[76:79], v108 offset:448
	;; [unrolled: 1-line block ×3, first 2 shown]
	ds_read_b128 v[84:87], v108
	ds_read_b128 v[88:91], v108 offset:896
	ds_read_b128 v[92:95], v108 offset:1120
	;; [unrolled: 1-line block ×3, first 2 shown]
	s_mov_b32 s2, 0x37e14327
	s_waitcnt lgkmcnt(6)
	v_mul_f64 v[100:101], v[42:43], v[26:27]
	v_mul_f64 v[42:43], v[42:43], v[24:25]
	s_waitcnt lgkmcnt(5)
	v_mul_f64 v[102:103], v[38:39], v[78:79]
	v_mul_f64 v[38:39], v[38:39], v[76:77]
	s_mov_b32 s0, 0x36b3c0b5
	s_mov_b32 s12, 0xe976ee23
	;; [unrolled: 1-line block ×4, first 2 shown]
	v_fma_f64 v[24:25], v[40:41], v[24:25], v[100:101]
	v_fma_f64 v[26:27], v[40:41], v[26:27], -v[42:43]
	v_fma_f64 v[40:41], v[36:37], v[76:77], v[102:103]
	v_fma_f64 v[36:37], v[36:37], v[78:79], -v[38:39]
	s_waitcnt lgkmcnt(0)
	v_mul_f64 v[38:39], v[46:47], v[98:99]
	v_mul_f64 v[42:43], v[46:47], v[96:97]
	;; [unrolled: 1-line block ×8, first 2 shown]
	v_fma_f64 v[38:39], v[44:45], v[96:97], v[38:39]
	v_fma_f64 v[42:43], v[44:45], v[98:99], -v[42:43]
	v_fma_f64 v[44:45], v[32:33], v[80:81], v[46:47]
	v_fma_f64 v[32:33], v[32:33], v[82:83], -v[34:35]
	;; [unrolled: 2-line block ×4, first 2 shown]
	v_add_f64 v[30:31], v[24:25], v[38:39]
	v_add_f64 v[50:51], v[26:27], v[42:43]
	v_add_f64 v[24:25], v[24:25], -v[38:39]
	v_add_f64 v[26:27], v[26:27], -v[42:43]
	v_add_f64 v[38:39], v[40:41], v[34:35]
	v_add_f64 v[42:43], v[36:37], v[46:47]
	v_add_f64 v[34:35], v[40:41], -v[34:35]
	v_add_f64 v[36:37], v[36:37], -v[46:47]
	;; [unrolled: 4-line block ×4, first 2 shown]
	v_add_f64 v[30:31], v[30:31], -v[40:41]
	v_add_f64 v[50:51], v[50:51], -v[46:47]
	;; [unrolled: 1-line block ×4, first 2 shown]
	v_add_f64 v[80:81], v[44:45], v[34:35]
	v_add_f64 v[82:83], v[28:29], v[36:37]
	v_add_f64 v[88:89], v[44:45], -v[34:35]
	v_add_f64 v[90:91], v[28:29], -v[36:37]
	v_add_f64 v[32:33], v[40:41], v[32:33]
	v_add_f64 v[40:41], v[46:47], v[48:49]
	v_add_f64 v[34:35], v[34:35], -v[24:25]
	v_add_f64 v[36:37], v[36:37], -v[26:27]
	s_mov_b32 s13, 0x3fe11646
	s_mov_b32 s4, 0x429ad128
	v_add_f64 v[44:45], v[24:25], -v[44:45]
	v_add_f64 v[28:29], v[26:27], -v[28:29]
	v_add_f64 v[46:47], v[80:81], v[24:25]
	v_add_f64 v[48:49], v[82:83], v[26:27]
	;; [unrolled: 1-line block ×4, first 2 shown]
	v_mul_f64 v[30:31], v[30:31], s[2:3]
	v_mul_f64 v[50:51], v[50:51], s[2:3]
	;; [unrolled: 1-line block ×6, first 2 shown]
	s_mov_b32 s5, 0xbfebfeb5
	v_mul_f64 v[88:89], v[34:35], s[4:5]
	v_mul_f64 v[90:91], v[36:37], s[4:5]
	s_mov_b32 s14, 0xaaaaaaaa
	s_mov_b32 s16, 0x5476071b
	;; [unrolled: 1-line block ×8, first 2 shown]
	v_fma_f64 v[32:33], v[32:33], s[14:15], v[24:25]
	v_fma_f64 v[40:41], v[40:41], s[14:15], v[26:27]
	;; [unrolled: 1-line block ×4, first 2 shown]
	v_fma_f64 v[80:81], v[76:77], s[16:17], -v[80:81]
	v_fma_f64 v[82:83], v[78:79], s[16:17], -v[82:83]
	v_fma_f64 v[30:31], v[76:77], s[18:19], -v[30:31]
	v_fma_f64 v[50:51], v[78:79], s[18:19], -v[50:51]
	v_fma_f64 v[76:77], v[44:45], s[20:21], v[84:85]
	v_fma_f64 v[78:79], v[28:29], s[20:21], v[86:87]
	s_mov_b32 s25, 0x3fd5d0dc
	s_mov_b32 s24, s20
	v_fma_f64 v[44:45], v[44:45], s[24:25], -v[88:89]
	v_fma_f64 v[28:29], v[28:29], s[24:25], -v[90:91]
	;; [unrolled: 1-line block ×4, first 2 shown]
	s_mov_b32 s22, 0x37c3f68c
	s_mov_b32 s23, 0xbfdc38aa
	v_add_f64 v[84:85], v[38:39], v[32:33]
	v_add_f64 v[86:87], v[42:43], v[40:41]
	v_fma_f64 v[78:79], v[48:49], s[22:23], v[78:79]
	v_fma_f64 v[76:77], v[46:47], s[22:23], v[76:77]
	v_add_f64 v[42:43], v[80:81], v[32:33]
	v_add_f64 v[80:81], v[82:83], v[40:41]
	;; [unrolled: 1-line block ×4, first 2 shown]
	v_fma_f64 v[88:89], v[48:49], s[22:23], v[28:29]
	v_fma_f64 v[90:91], v[46:47], s[22:23], v[44:45]
	;; [unrolled: 1-line block ×4, first 2 shown]
	v_add_f64 v[28:29], v[78:79], v[84:85]
	v_add_f64 v[30:31], v[86:87], -v[76:77]
	v_add_f64 v[48:49], v[84:85], -v[78:79]
	v_add_f64 v[32:33], v[88:89], v[82:83]
	v_add_f64 v[34:35], v[50:51], -v[90:91]
	v_add_f64 v[36:37], v[42:43], -v[40:41]
	v_add_f64 v[38:39], v[44:45], v[80:81]
	v_add_f64 v[40:41], v[40:41], v[42:43]
	v_add_f64 v[42:43], v[80:81], -v[44:45]
	v_add_f64 v[44:45], v[82:83], -v[88:89]
	v_add_f64 v[46:47], v[90:91], v[50:51]
	v_add_f64 v[50:51], v[76:77], v[86:87]
	s_barrier
	ds_write_b128 v111, v[24:27]
	ds_write_b128 v111, v[28:31] offset:32
	ds_write_b128 v111, v[32:35] offset:64
	;; [unrolled: 1-line block ×6, first 2 shown]
	s_waitcnt lgkmcnt(0)
	s_barrier
	ds_read_b128 v[24:27], v108 offset:224
	ds_read_b128 v[28:31], v108 offset:448
	;; [unrolled: 1-line block ×3, first 2 shown]
	ds_read_b128 v[36:39], v108
	ds_read_b128 v[40:43], v108 offset:896
	ds_read_b128 v[44:47], v108 offset:1120
	;; [unrolled: 1-line block ×3, first 2 shown]
	s_waitcnt lgkmcnt(6)
	v_mul_f64 v[76:77], v[66:67], v[26:27]
	v_mul_f64 v[66:67], v[66:67], v[24:25]
	s_waitcnt lgkmcnt(5)
	v_mul_f64 v[78:79], v[62:63], v[30:31]
	v_mul_f64 v[62:63], v[62:63], v[28:29]
	v_fma_f64 v[24:25], v[64:65], v[24:25], v[76:77]
	v_fma_f64 v[26:27], v[64:65], v[26:27], -v[66:67]
	v_fma_f64 v[28:29], v[60:61], v[28:29], v[78:79]
	v_fma_f64 v[30:31], v[60:61], v[30:31], -v[62:63]
	s_waitcnt lgkmcnt(0)
	v_mul_f64 v[60:61], v[70:71], v[50:51]
	v_mul_f64 v[62:63], v[70:71], v[48:49]
	;; [unrolled: 1-line block ×8, first 2 shown]
	v_fma_f64 v[48:49], v[68:69], v[48:49], v[60:61]
	v_fma_f64 v[50:51], v[68:69], v[50:51], -v[62:63]
	v_fma_f64 v[44:45], v[72:73], v[44:45], v[66:67]
	v_fma_f64 v[46:47], v[72:73], v[46:47], -v[70:71]
	;; [unrolled: 2-line block ×4, first 2 shown]
	v_add_f64 v[52:53], v[24:25], v[48:49]
	v_add_f64 v[54:55], v[26:27], v[50:51]
	v_add_f64 v[24:25], v[24:25], -v[48:49]
	v_add_f64 v[26:27], v[26:27], -v[50:51]
	v_add_f64 v[48:49], v[28:29], v[44:45]
	v_add_f64 v[50:51], v[30:31], v[46:47]
	v_add_f64 v[28:29], v[28:29], -v[44:45]
	v_add_f64 v[30:31], v[30:31], -v[46:47]
	;; [unrolled: 4-line block ×4, first 2 shown]
	v_add_f64 v[52:53], v[52:53], -v[44:45]
	v_add_f64 v[54:55], v[54:55], -v[46:47]
	;; [unrolled: 1-line block ×4, first 2 shown]
	v_add_f64 v[60:61], v[32:33], v[28:29]
	v_add_f64 v[62:63], v[34:35], v[30:31]
	v_add_f64 v[64:65], v[32:33], -v[28:29]
	v_add_f64 v[66:67], v[34:35], -v[30:31]
	v_add_f64 v[40:41], v[44:45], v[40:41]
	v_add_f64 v[42:43], v[46:47], v[42:43]
	v_add_f64 v[28:29], v[28:29], -v[24:25]
	v_add_f64 v[30:31], v[30:31], -v[26:27]
	;; [unrolled: 1-line block ×4, first 2 shown]
	v_add_f64 v[44:45], v[60:61], v[24:25]
	v_add_f64 v[46:47], v[62:63], v[26:27]
	;; [unrolled: 1-line block ×4, first 2 shown]
	v_mul_f64 v[36:37], v[52:53], s[2:3]
	v_mul_f64 v[38:39], v[54:55], s[2:3]
	;; [unrolled: 1-line block ×8, first 2 shown]
	v_fma_f64 v[40:41], v[40:41], s[14:15], v[24:25]
	v_fma_f64 v[42:43], v[42:43], s[14:15], v[26:27]
	v_fma_f64 v[48:49], v[48:49], s[0:1], v[36:37]
	v_fma_f64 v[50:51], v[50:51], s[0:1], v[38:39]
	v_fma_f64 v[52:53], v[56:57], s[16:17], -v[52:53]
	v_fma_f64 v[54:55], v[58:59], s[16:17], -v[54:55]
	v_fma_f64 v[36:37], v[56:57], s[18:19], -v[36:37]
	v_fma_f64 v[38:39], v[58:59], s[18:19], -v[38:39]
	v_fma_f64 v[56:57], v[32:33], s[20:21], v[60:61]
	v_fma_f64 v[58:59], v[34:35], s[20:21], v[62:63]
	v_fma_f64 v[32:33], v[32:33], s[24:25], -v[64:65]
	v_fma_f64 v[34:35], v[34:35], s[24:25], -v[66:67]
	;; [unrolled: 1-line block ×4, first 2 shown]
	v_add_f64 v[48:49], v[48:49], v[40:41]
	v_add_f64 v[50:51], v[50:51], v[42:43]
	v_fma_f64 v[56:57], v[44:45], s[22:23], v[56:57]
	v_fma_f64 v[58:59], v[46:47], s[22:23], v[58:59]
	v_add_f64 v[60:61], v[36:37], v[40:41]
	v_add_f64 v[62:63], v[38:39], v[42:43]
	v_fma_f64 v[64:65], v[46:47], s[22:23], v[34:35]
	v_fma_f64 v[66:67], v[44:45], s[22:23], v[32:33]
	;; [unrolled: 4-line block ×3, first 2 shown]
	v_add_f64 v[28:29], v[58:59], v[48:49]
	v_add_f64 v[30:31], v[50:51], -v[56:57]
	v_add_f64 v[32:33], v[64:65], v[60:61]
	v_add_f64 v[34:35], v[62:63], -v[66:67]
	v_add_f64 v[44:45], v[60:61], -v[64:65]
	v_add_f64 v[46:47], v[66:67], v[62:63]
	v_add_f64 v[36:37], v[52:53], -v[40:41]
	v_add_f64 v[38:39], v[42:43], v[54:55]
	v_add_f64 v[40:41], v[40:41], v[52:53]
	v_add_f64 v[42:43], v[54:55], -v[42:43]
	v_add_f64 v[48:49], v[48:49], -v[58:59]
	v_add_f64 v[50:51], v[56:57], v[50:51]
	ds_write_b128 v108, v[24:27]
	ds_write_b128 v108, v[28:31] offset:224
	ds_write_b128 v108, v[32:35] offset:448
	;; [unrolled: 1-line block ×6, first 2 shown]
	s_waitcnt lgkmcnt(0)
	s_barrier
	ds_read_b128 v[24:27], v108
	ds_read_b128 v[28:31], v108 offset:224
	v_mad_u64_u32 v[52:53], s[0:1], s10, v104, 0
	v_mov_b32_e32 v42, s7
	s_waitcnt lgkmcnt(1)
	v_mul_f64 v[33:34], v[22:23], v[26:27]
	v_mul_f64 v[22:23], v[22:23], v[24:25]
	v_mov_b32_e32 v32, v53
	s_mov_b32 s2, 0xa72f0539
	s_mov_b32 s3, 0x3f84e5e0
	v_mad_u64_u32 v[35:36], s[0:1], s11, v104, v[32:33]
	v_mad_u64_u32 v[36:37], s[0:1], s8, v107, 0
	v_fma_f64 v[24:25], v[20:21], v[24:25], v[33:34]
	v_fma_f64 v[26:27], v[20:21], v[26:27], -v[22:23]
	v_mov_b32_e32 v20, v37
	v_mad_u64_u32 v[32:33], s[0:1], s9, v107, v[20:21]
	ds_read_b128 v[20:23], v108 offset:784
	v_mov_b32_e32 v53, v35
	v_mov_b32_e32 v37, v32
	ds_read_b128 v[32:35], v108 offset:448
	v_lshlrev_b64 v[40:41], 4, v[52:53]
	s_waitcnt lgkmcnt(1)
	v_mul_f64 v[38:39], v[2:3], v[22:23]
	v_mul_f64 v[2:3], v[2:3], v[20:21]
	v_add_co_u32_e64 v40, s[0:1], s6, v40
	v_addc_co_u32_e64 v41, s[0:1], v42, v41, s[0:1]
	v_mul_f64 v[24:25], v[24:25], s[2:3]
	v_mul_f64 v[26:27], v[26:27], s[2:3]
	v_fma_f64 v[20:21], v[0:1], v[20:21], v[38:39]
	v_fma_f64 v[2:3], v[0:1], v[22:23], -v[2:3]
	v_lshlrev_b64 v[0:1], 4, v[36:37]
	v_add_co_u32_e64 v22, s[0:1], v40, v0
	v_addc_co_u32_e64 v23, s[0:1], v41, v1, s[0:1]
	v_mul_f64 v[0:1], v[20:21], s[2:3]
	v_mul_f64 v[20:21], v[10:11], v[30:31]
	;; [unrolled: 1-line block ×3, first 2 shown]
	s_mul_i32 s0, s9, 49
	s_mul_hi_u32 s1, s8, 49
	s_add_i32 s1, s1, s0
	s_mul_i32 s0, s8, 49
	v_mul_f64 v[10:11], v[10:11], v[28:29]
	s_lshl_b64 s[4:5], s[0:1], 4
	v_fma_f64 v[20:21], v[8:9], v[28:29], v[20:21]
	global_store_dwordx4 v[22:23], v[24:27], off
	v_mov_b32_e32 v36, s5
	v_add_co_u32_e64 v24, s[0:1], s4, v22
	v_addc_co_u32_e64 v25, s[0:1], v23, v36, s[0:1]
	global_store_dwordx4 v[24:25], v[0:3], off
	ds_read_b128 v[0:3], v108 offset:1008
	v_fma_f64 v[10:11], v[8:9], v[30:31], -v[10:11]
	v_mul_f64 v[8:9], v[20:21], s[2:3]
	ds_read_b128 v[20:23], v108 offset:1232
	s_mul_hi_u32 s1, s8, 0xffffffdd
	s_waitcnt lgkmcnt(1)
	v_mul_f64 v[26:27], v[6:7], v[2:3]
	v_mul_f64 v[6:7], v[6:7], v[0:1]
	s_mul_i32 s0, s9, 0xffffffdd
	s_sub_i32 s1, s1, s8
	v_mul_f64 v[10:11], v[10:11], s[2:3]
	s_add_i32 s1, s1, s0
	s_mul_i32 s0, s8, 0xffffffdd
	s_lshl_b64 s[6:7], s[0:1], 4
	v_fma_f64 v[0:1], v[4:5], v[0:1], v[26:27]
	v_fma_f64 v[2:3], v[4:5], v[2:3], -v[6:7]
	v_mul_f64 v[4:5], v[14:15], v[34:35]
	v_mul_f64 v[6:7], v[14:15], v[32:33]
	s_waitcnt lgkmcnt(0)
	v_mul_f64 v[14:15], v[18:19], v[22:23]
	v_mul_f64 v[18:19], v[18:19], v[20:21]
	v_mov_b32_e32 v28, s7
	v_add_co_u32_e64 v24, s[0:1], s6, v24
	v_addc_co_u32_e64 v25, s[0:1], v25, v28, s[0:1]
	v_fma_f64 v[4:5], v[12:13], v[32:33], v[4:5]
	v_fma_f64 v[6:7], v[12:13], v[34:35], -v[6:7]
	global_store_dwordx4 v[24:25], v[8:11], off
	v_mul_f64 v[0:1], v[0:1], s[2:3]
	v_fma_f64 v[8:9], v[16:17], v[20:21], v[14:15]
	v_fma_f64 v[10:11], v[16:17], v[22:23], -v[18:19]
	v_mul_f64 v[2:3], v[2:3], s[2:3]
	v_add_co_u32_e64 v12, s[0:1], s4, v24
	v_mul_f64 v[4:5], v[4:5], s[2:3]
	v_mul_f64 v[6:7], v[6:7], s[2:3]
	v_addc_co_u32_e64 v13, s[0:1], v25, v36, s[0:1]
	v_mul_f64 v[8:9], v[8:9], s[2:3]
	v_mul_f64 v[10:11], v[10:11], s[2:3]
	global_store_dwordx4 v[12:13], v[0:3], off
	s_nop 0
	v_add_co_u32_e64 v0, s[0:1], s6, v12
	v_addc_co_u32_e64 v1, s[0:1], v13, v28, s[0:1]
	global_store_dwordx4 v[0:1], v[4:7], off
	v_add_co_u32_e64 v0, s[0:1], s4, v0
	v_addc_co_u32_e64 v1, s[0:1], v1, v36, s[0:1]
	global_store_dwordx4 v[0:1], v[8:11], off
	s_and_b64 exec, exec, vcc
	s_cbranch_execz .LBB0_15
; %bb.14:
	global_load_dwordx4 v[2:5], v[105:106], off offset:672
	global_load_dwordx4 v[6:9], v[105:106], off offset:1456
	ds_read_b128 v[10:13], v108 offset:672
	ds_read_b128 v[14:17], v108 offset:1456
	v_add_co_u32_e32 v0, vcc, s6, v0
	s_waitcnt vmcnt(1) lgkmcnt(1)
	v_mul_f64 v[18:19], v[12:13], v[4:5]
	v_mul_f64 v[4:5], v[10:11], v[4:5]
	s_waitcnt vmcnt(0) lgkmcnt(0)
	v_mul_f64 v[20:21], v[16:17], v[8:9]
	v_mul_f64 v[8:9], v[14:15], v[8:9]
	v_fma_f64 v[10:11], v[10:11], v[2:3], v[18:19]
	v_fma_f64 v[4:5], v[2:3], v[12:13], -v[4:5]
	v_fma_f64 v[12:13], v[14:15], v[6:7], v[20:21]
	v_fma_f64 v[8:9], v[6:7], v[16:17], -v[8:9]
	v_mov_b32_e32 v14, s7
	v_addc_co_u32_e32 v1, vcc, v1, v14, vcc
	v_mov_b32_e32 v15, s5
	v_mul_f64 v[2:3], v[10:11], s[2:3]
	v_mul_f64 v[4:5], v[4:5], s[2:3]
	;; [unrolled: 1-line block ×4, first 2 shown]
	v_add_co_u32_e32 v10, vcc, s4, v0
	v_addc_co_u32_e32 v11, vcc, v1, v15, vcc
	global_store_dwordx4 v[0:1], v[2:5], off
	global_store_dwordx4 v[10:11], v[6:9], off
.LBB0_15:
	s_endpgm
	.section	.rodata,"a",@progbits
	.p2align	6, 0x0
	.amdhsa_kernel bluestein_single_fwd_len98_dim1_dp_op_CI_CI
		.amdhsa_group_segment_fixed_size 28224
		.amdhsa_private_segment_fixed_size 0
		.amdhsa_kernarg_size 104
		.amdhsa_user_sgpr_count 6
		.amdhsa_user_sgpr_private_segment_buffer 1
		.amdhsa_user_sgpr_dispatch_ptr 0
		.amdhsa_user_sgpr_queue_ptr 0
		.amdhsa_user_sgpr_kernarg_segment_ptr 1
		.amdhsa_user_sgpr_dispatch_id 0
		.amdhsa_user_sgpr_flat_scratch_init 0
		.amdhsa_user_sgpr_private_segment_size 0
		.amdhsa_uses_dynamic_stack 0
		.amdhsa_system_sgpr_private_segment_wavefront_offset 0
		.amdhsa_system_sgpr_workgroup_id_x 1
		.amdhsa_system_sgpr_workgroup_id_y 0
		.amdhsa_system_sgpr_workgroup_id_z 0
		.amdhsa_system_sgpr_workgroup_info 0
		.amdhsa_system_vgpr_workitem_id 0
		.amdhsa_next_free_vgpr 155
		.amdhsa_next_free_sgpr 31
		.amdhsa_reserve_vcc 1
		.amdhsa_reserve_flat_scratch 0
		.amdhsa_float_round_mode_32 0
		.amdhsa_float_round_mode_16_64 0
		.amdhsa_float_denorm_mode_32 3
		.amdhsa_float_denorm_mode_16_64 3
		.amdhsa_dx10_clamp 1
		.amdhsa_ieee_mode 1
		.amdhsa_fp16_overflow 0
		.amdhsa_exception_fp_ieee_invalid_op 0
		.amdhsa_exception_fp_denorm_src 0
		.amdhsa_exception_fp_ieee_div_zero 0
		.amdhsa_exception_fp_ieee_overflow 0
		.amdhsa_exception_fp_ieee_underflow 0
		.amdhsa_exception_fp_ieee_inexact 0
		.amdhsa_exception_int_div_zero 0
	.end_amdhsa_kernel
	.text
.Lfunc_end0:
	.size	bluestein_single_fwd_len98_dim1_dp_op_CI_CI, .Lfunc_end0-bluestein_single_fwd_len98_dim1_dp_op_CI_CI
                                        ; -- End function
	.section	.AMDGPU.csdata,"",@progbits
; Kernel info:
; codeLenInByte = 7244
; NumSgprs: 35
; NumVgprs: 155
; ScratchSize: 0
; MemoryBound: 0
; FloatMode: 240
; IeeeMode: 1
; LDSByteSize: 28224 bytes/workgroup (compile time only)
; SGPRBlocks: 4
; VGPRBlocks: 38
; NumSGPRsForWavesPerEU: 35
; NumVGPRsForWavesPerEU: 155
; Occupancy: 1
; WaveLimiterHint : 1
; COMPUTE_PGM_RSRC2:SCRATCH_EN: 0
; COMPUTE_PGM_RSRC2:USER_SGPR: 6
; COMPUTE_PGM_RSRC2:TRAP_HANDLER: 0
; COMPUTE_PGM_RSRC2:TGID_X_EN: 1
; COMPUTE_PGM_RSRC2:TGID_Y_EN: 0
; COMPUTE_PGM_RSRC2:TGID_Z_EN: 0
; COMPUTE_PGM_RSRC2:TIDIG_COMP_CNT: 0
	.type	__hip_cuid_c7b131a85f689563,@object ; @__hip_cuid_c7b131a85f689563
	.section	.bss,"aw",@nobits
	.globl	__hip_cuid_c7b131a85f689563
__hip_cuid_c7b131a85f689563:
	.byte	0                               ; 0x0
	.size	__hip_cuid_c7b131a85f689563, 1

	.ident	"AMD clang version 19.0.0git (https://github.com/RadeonOpenCompute/llvm-project roc-6.4.0 25133 c7fe45cf4b819c5991fe208aaa96edf142730f1d)"
	.section	".note.GNU-stack","",@progbits
	.addrsig
	.addrsig_sym __hip_cuid_c7b131a85f689563
	.amdgpu_metadata
---
amdhsa.kernels:
  - .args:
      - .actual_access:  read_only
        .address_space:  global
        .offset:         0
        .size:           8
        .value_kind:     global_buffer
      - .actual_access:  read_only
        .address_space:  global
        .offset:         8
        .size:           8
        .value_kind:     global_buffer
      - .actual_access:  read_only
        .address_space:  global
        .offset:         16
        .size:           8
        .value_kind:     global_buffer
      - .actual_access:  read_only
        .address_space:  global
        .offset:         24
        .size:           8
        .value_kind:     global_buffer
      - .actual_access:  read_only
        .address_space:  global
        .offset:         32
        .size:           8
        .value_kind:     global_buffer
      - .offset:         40
        .size:           8
        .value_kind:     by_value
      - .address_space:  global
        .offset:         48
        .size:           8
        .value_kind:     global_buffer
      - .address_space:  global
        .offset:         56
        .size:           8
        .value_kind:     global_buffer
      - .address_space:  global
        .offset:         64
        .size:           8
        .value_kind:     global_buffer
      - .address_space:  global
        .offset:         72
        .size:           8
        .value_kind:     global_buffer
      - .offset:         80
        .size:           4
        .value_kind:     by_value
      - .address_space:  global
        .offset:         88
        .size:           8
        .value_kind:     global_buffer
      - .address_space:  global
        .offset:         96
        .size:           8
        .value_kind:     global_buffer
    .group_segment_fixed_size: 28224
    .kernarg_segment_align: 8
    .kernarg_segment_size: 104
    .language:       OpenCL C
    .language_version:
      - 2
      - 0
    .max_flat_workgroup_size: 252
    .name:           bluestein_single_fwd_len98_dim1_dp_op_CI_CI
    .private_segment_fixed_size: 0
    .sgpr_count:     35
    .sgpr_spill_count: 0
    .symbol:         bluestein_single_fwd_len98_dim1_dp_op_CI_CI.kd
    .uniform_work_group_size: 1
    .uses_dynamic_stack: false
    .vgpr_count:     155
    .vgpr_spill_count: 0
    .wavefront_size: 64
amdhsa.target:   amdgcn-amd-amdhsa--gfx906
amdhsa.version:
  - 1
  - 2
...

	.end_amdgpu_metadata
